;; amdgpu-corpus repo=ROCm/rocFFT kind=compiled arch=gfx906 opt=O3
	.text
	.amdgcn_target "amdgcn-amd-amdhsa--gfx906"
	.amdhsa_code_object_version 6
	.protected	fft_rtc_back_len216_factors_6_6_6_wgs_324_tpt_36_sp_op_CI_CI_sbcc_twdbase8_2step_dirReg_intrinsicRead ; -- Begin function fft_rtc_back_len216_factors_6_6_6_wgs_324_tpt_36_sp_op_CI_CI_sbcc_twdbase8_2step_dirReg_intrinsicRead
	.globl	fft_rtc_back_len216_factors_6_6_6_wgs_324_tpt_36_sp_op_CI_CI_sbcc_twdbase8_2step_dirReg_intrinsicRead
	.p2align	8
	.type	fft_rtc_back_len216_factors_6_6_6_wgs_324_tpt_36_sp_op_CI_CI_sbcc_twdbase8_2step_dirReg_intrinsicRead,@function
fft_rtc_back_len216_factors_6_6_6_wgs_324_tpt_36_sp_op_CI_CI_sbcc_twdbase8_2step_dirReg_intrinsicRead: ; @fft_rtc_back_len216_factors_6_6_6_wgs_324_tpt_36_sp_op_CI_CI_sbcc_twdbase8_2step_dirReg_intrinsicRead
; %bb.0:
	s_load_dwordx4 s[0:3], s[4:5], 0x18
	s_load_dwordx2 s[24:25], s[4:5], 0x28
	s_mov_b32 s7, 0
	s_mov_b64 s[26:27], 0
	s_waitcnt lgkmcnt(0)
	s_load_dwordx2 s[30:31], s[0:1], 0x8
	s_waitcnt lgkmcnt(0)
	s_add_u32 s8, s30, -1
	s_addc_u32 s9, s31, -1
	s_add_u32 s10, 0, 0x71c4fc00
	s_addc_u32 s11, 0, 0x7c
	s_mul_hi_u32 s13, s10, -9
	s_add_i32 s11, s11, 0x1c71c6a0
	s_sub_i32 s13, s13, s10
	s_mul_i32 s16, s11, -9
	s_mul_i32 s12, s10, -9
	s_add_i32 s13, s13, s16
	s_mul_hi_u32 s14, s11, s12
	s_mul_i32 s15, s11, s12
	s_mul_i32 s17, s10, s13
	s_mul_hi_u32 s12, s10, s12
	s_mul_hi_u32 s16, s10, s13
	s_add_u32 s12, s12, s17
	s_addc_u32 s16, 0, s16
	s_add_u32 s12, s12, s15
	s_mul_hi_u32 s17, s11, s13
	s_addc_u32 s12, s16, s14
	s_addc_u32 s14, s17, 0
	s_mul_i32 s13, s11, s13
	s_add_u32 s12, s12, s13
	v_mov_b32_e32 v1, s12
	s_addc_u32 s13, 0, s14
	v_add_co_u32_e32 v1, vcc, s10, v1
	s_cmp_lg_u64 vcc, 0
	s_addc_u32 s10, s11, s13
	v_readfirstlane_b32 s13, v1
	s_mul_i32 s12, s8, s10
	s_mul_hi_u32 s14, s8, s13
	s_mul_hi_u32 s11, s8, s10
	s_add_u32 s12, s14, s12
	s_addc_u32 s11, 0, s11
	s_mul_hi_u32 s15, s9, s13
	s_mul_i32 s13, s9, s13
	s_add_u32 s12, s12, s13
	s_mul_hi_u32 s14, s9, s10
	s_addc_u32 s11, s11, s15
	s_addc_u32 s12, s14, 0
	s_mul_i32 s10, s9, s10
	s_add_u32 s10, s11, s10
	s_addc_u32 s11, 0, s12
	s_add_u32 s12, s10, 1
	s_addc_u32 s13, s11, 0
	s_add_u32 s14, s10, 2
	s_mul_i32 s16, s11, 9
	s_mul_hi_u32 s17, s10, 9
	s_addc_u32 s15, s11, 0
	s_add_i32 s17, s17, s16
	s_mul_i32 s16, s10, 9
	v_mov_b32_e32 v1, s16
	v_sub_co_u32_e32 v1, vcc, s8, v1
	s_cmp_lg_u64 vcc, 0
	s_subb_u32 s8, s9, s17
	v_subrev_co_u32_e32 v2, vcc, 9, v1
	s_cmp_lg_u64 vcc, 0
	s_subb_u32 s9, s8, 0
	v_readfirstlane_b32 s16, v2
	s_cmp_gt_u32 s16, 8
	s_cselect_b32 s16, -1, 0
	s_cmp_eq_u32 s9, 0
	s_cselect_b32 s9, s16, -1
	s_cmp_lg_u32 s9, 0
	s_cselect_b32 s9, s14, s12
	s_cselect_b32 s12, s15, s13
	v_readfirstlane_b32 s13, v1
	s_cmp_gt_u32 s13, 8
	s_cselect_b32 s13, -1, 0
	s_cmp_eq_u32 s8, 0
	s_cselect_b32 s8, s13, -1
	s_cmp_lg_u32 s8, 0
	s_cselect_b32 s9, s9, s10
	s_cselect_b32 s8, s12, s11
	s_add_u32 s34, s9, 1
	s_addc_u32 s35, s8, 0
	v_mov_b32_e32 v1, s34
	v_mov_b32_e32 v2, s35
	v_cmp_lt_u64_e32 vcc, s[6:7], v[1:2]
	s_cbranch_vccnz .LBB0_2
; %bb.1:
	v_cvt_f32_u32_e32 v1, s34
	s_sub_i32 s8, 0, s34
	s_mov_b32 s27, s7
	v_rcp_iflag_f32_e32 v1, v1
	v_mul_f32_e32 v1, 0x4f7ffffe, v1
	v_cvt_u32_f32_e32 v1, v1
	v_readfirstlane_b32 s9, v1
	s_mul_i32 s8, s8, s9
	s_mul_hi_u32 s8, s9, s8
	s_add_i32 s9, s9, s8
	s_mul_hi_u32 s8, s6, s9
	s_mul_i32 s10, s8, s34
	s_sub_i32 s10, s6, s10
	s_add_i32 s9, s8, 1
	s_sub_i32 s11, s10, s34
	s_cmp_ge_u32 s10, s34
	s_cselect_b32 s8, s9, s8
	s_cselect_b32 s10, s11, s10
	s_add_i32 s9, s8, 1
	s_cmp_ge_u32 s10, s34
	s_cselect_b32 s26, s9, s8
.LBB0_2:
	s_load_dwordx4 s[12:15], s[4:5], 0x60
	s_load_dwordx4 s[20:23], s[2:3], 0x0
	;; [unrolled: 1-line block ×3, first 2 shown]
	s_load_dwordx2 s[28:29], s[4:5], 0x0
	s_load_dwordx4 s[16:19], s[4:5], 0x8
	s_mul_i32 s4, s26, s35
	s_mul_hi_u32 s5, s26, s34
	s_add_i32 s5, s5, s4
	s_mul_i32 s4, s26, s34
	s_sub_u32 s33, s6, s4
	s_subb_u32 s4, 0, s5
	s_mul_i32 s4, s4, 9
	s_waitcnt lgkmcnt(0)
	s_mul_hi_u32 s21, s33, 9
	s_add_i32 s21, s21, s4
	s_mul_i32 s33, s33, 9
	s_mul_i32 s4, s22, s21
	s_mul_hi_u32 s5, s22, s33
	s_add_i32 s4, s5, s4
	s_mul_i32 s5, s23, s33
	s_add_i32 s50, s4, s5
	s_mul_i32 s4, s10, s21
	s_mul_hi_u32 s5, s10, s33
	v_cmp_lt_u64_e64 s[36:37], s[18:19], 3
	s_add_i32 s4, s5, s4
	s_mul_i32 s5, s11, s33
	s_mul_i32 s23, s22, s33
	s_add_i32 s5, s4, s5
	s_mul_i32 s4, s10, s33
	s_and_b64 vcc, exec, s[36:37]
	s_cbranch_vccnz .LBB0_12
; %bb.3:
	s_add_u32 s36, s24, 16
	s_addc_u32 s37, s25, 0
	s_add_u32 s38, s2, 16
	s_addc_u32 s39, s3, 0
	s_add_u32 s40, s0, 16
	v_mov_b32_e32 v1, s18
	s_addc_u32 s41, s1, 0
	s_mov_b64 s[42:43], 2
	s_mov_b32 s44, 0
	v_mov_b32_e32 v2, s19
.LBB0_4:                                ; =>This Inner Loop Header: Depth=1
	s_load_dwordx2 s[46:47], s[40:41], 0x0
	s_waitcnt lgkmcnt(0)
	s_or_b64 s[0:1], s[26:27], s[46:47]
	s_mov_b32 s45, s1
	s_cmp_lg_u64 s[44:45], 0
	s_cbranch_scc0 .LBB0_9
; %bb.5:                                ;   in Loop: Header=BB0_4 Depth=1
	v_cvt_f32_u32_e32 v3, s46
	v_cvt_f32_u32_e32 v4, s47
	s_sub_u32 s0, 0, s46
	s_subb_u32 s1, 0, s47
	v_mac_f32_e32 v3, 0x4f800000, v4
	v_rcp_f32_e32 v3, v3
	v_mul_f32_e32 v3, 0x5f7ffffc, v3
	v_mul_f32_e32 v4, 0x2f800000, v3
	v_trunc_f32_e32 v4, v4
	v_mac_f32_e32 v3, 0xcf800000, v4
	v_cvt_u32_f32_e32 v4, v4
	v_cvt_u32_f32_e32 v3, v3
	v_readfirstlane_b32 s45, v4
	v_readfirstlane_b32 s48, v3
	s_mul_i32 s49, s0, s45
	s_mul_hi_u32 s52, s0, s48
	s_mul_i32 s51, s1, s48
	s_add_i32 s49, s52, s49
	s_mul_i32 s53, s0, s48
	s_add_i32 s49, s49, s51
	s_mul_hi_u32 s51, s48, s49
	s_mul_i32 s52, s48, s49
	s_mul_hi_u32 s48, s48, s53
	s_add_u32 s48, s48, s52
	s_addc_u32 s51, 0, s51
	s_mul_hi_u32 s54, s45, s53
	s_mul_i32 s53, s45, s53
	s_add_u32 s48, s48, s53
	s_mul_hi_u32 s52, s45, s49
	s_addc_u32 s48, s51, s54
	s_addc_u32 s51, s52, 0
	s_mul_i32 s49, s45, s49
	s_add_u32 s48, s48, s49
	s_addc_u32 s49, 0, s51
	v_add_co_u32_e32 v3, vcc, s48, v3
	s_cmp_lg_u64 vcc, 0
	s_addc_u32 s45, s45, s49
	v_readfirstlane_b32 s49, v3
	s_mul_i32 s48, s0, s45
	s_mul_hi_u32 s51, s0, s49
	s_add_i32 s48, s51, s48
	s_mul_i32 s1, s1, s49
	s_add_i32 s48, s48, s1
	s_mul_i32 s0, s0, s49
	s_mul_hi_u32 s51, s45, s0
	s_mul_i32 s52, s45, s0
	s_mul_i32 s54, s49, s48
	s_mul_hi_u32 s0, s49, s0
	s_mul_hi_u32 s53, s49, s48
	s_add_u32 s0, s0, s54
	s_addc_u32 s49, 0, s53
	s_add_u32 s0, s0, s52
	s_mul_hi_u32 s1, s45, s48
	s_addc_u32 s0, s49, s51
	s_addc_u32 s1, s1, 0
	s_mul_i32 s48, s45, s48
	s_add_u32 s0, s0, s48
	s_addc_u32 s1, 0, s1
	v_add_co_u32_e32 v3, vcc, s0, v3
	s_cmp_lg_u64 vcc, 0
	s_addc_u32 s0, s45, s1
	v_readfirstlane_b32 s48, v3
	s_mul_i32 s45, s26, s0
	s_mul_hi_u32 s49, s26, s48
	s_mul_hi_u32 s1, s26, s0
	s_add_u32 s45, s49, s45
	s_addc_u32 s1, 0, s1
	s_mul_hi_u32 s51, s27, s48
	s_mul_i32 s48, s27, s48
	s_add_u32 s45, s45, s48
	s_mul_hi_u32 s49, s27, s0
	s_addc_u32 s1, s1, s51
	s_addc_u32 s45, s49, 0
	s_mul_i32 s0, s27, s0
	s_add_u32 s48, s1, s0
	s_addc_u32 s45, 0, s45
	s_mul_i32 s0, s46, s45
	s_mul_hi_u32 s1, s46, s48
	s_add_i32 s0, s1, s0
	s_mul_i32 s1, s47, s48
	s_add_i32 s49, s0, s1
	s_mul_i32 s1, s46, s48
	v_mov_b32_e32 v3, s1
	s_sub_i32 s0, s27, s49
	v_sub_co_u32_e32 v3, vcc, s26, v3
	s_cmp_lg_u64 vcc, 0
	s_subb_u32 s51, s0, s47
	v_subrev_co_u32_e64 v4, s[0:1], s46, v3
	s_cmp_lg_u64 s[0:1], 0
	s_subb_u32 s0, s51, 0
	s_cmp_ge_u32 s0, s47
	v_readfirstlane_b32 s51, v4
	s_cselect_b32 s1, -1, 0
	s_cmp_ge_u32 s51, s46
	s_cselect_b32 s51, -1, 0
	s_cmp_eq_u32 s0, s47
	s_cselect_b32 s0, s51, s1
	s_add_u32 s1, s48, 1
	s_addc_u32 s51, s45, 0
	s_add_u32 s52, s48, 2
	s_addc_u32 s53, s45, 0
	s_cmp_lg_u32 s0, 0
	s_cselect_b32 s0, s52, s1
	s_cselect_b32 s1, s53, s51
	s_cmp_lg_u64 vcc, 0
	s_subb_u32 s49, s27, s49
	s_cmp_ge_u32 s49, s47
	v_readfirstlane_b32 s52, v3
	s_cselect_b32 s51, -1, 0
	s_cmp_ge_u32 s52, s46
	s_cselect_b32 s52, -1, 0
	s_cmp_eq_u32 s49, s47
	s_cselect_b32 s49, s52, s51
	s_cmp_lg_u32 s49, 0
	s_cselect_b32 s1, s1, s45
	s_cselect_b32 s0, s0, s48
	s_cbranch_execnz .LBB0_7
.LBB0_6:                                ;   in Loop: Header=BB0_4 Depth=1
	v_cvt_f32_u32_e32 v3, s46
	s_sub_i32 s0, 0, s46
	v_rcp_iflag_f32_e32 v3, v3
	v_mul_f32_e32 v3, 0x4f7ffffe, v3
	v_cvt_u32_f32_e32 v3, v3
	v_readfirstlane_b32 s1, v3
	s_mul_i32 s0, s0, s1
	s_mul_hi_u32 s0, s1, s0
	s_add_i32 s1, s1, s0
	s_mul_hi_u32 s0, s26, s1
	s_mul_i32 s45, s0, s46
	s_sub_i32 s45, s26, s45
	s_add_i32 s1, s0, 1
	s_sub_i32 s48, s45, s46
	s_cmp_ge_u32 s45, s46
	s_cselect_b32 s0, s1, s0
	s_cselect_b32 s45, s48, s45
	s_add_i32 s1, s0, 1
	s_cmp_ge_u32 s45, s46
	s_cselect_b32 s0, s1, s0
	s_mov_b32 s1, s44
.LBB0_7:                                ;   in Loop: Header=BB0_4 Depth=1
	s_mul_i32 s35, s46, s35
	s_mul_hi_u32 s45, s46, s34
	s_add_i32 s35, s45, s35
	s_mul_i32 s45, s47, s34
	s_add_i32 s35, s35, s45
	s_mul_i32 s45, s0, s47
	s_mul_hi_u32 s47, s0, s46
	s_load_dwordx2 s[48:49], s[38:39], 0x0
	s_add_i32 s45, s47, s45
	s_mul_i32 s47, s1, s46
	s_mul_i32 s34, s46, s34
	s_add_i32 s45, s45, s47
	s_mul_i32 s46, s0, s46
	s_sub_u32 s46, s26, s46
	s_subb_u32 s45, s27, s45
	s_waitcnt lgkmcnt(0)
	s_mul_i32 s26, s48, s45
	s_mul_hi_u32 s27, s48, s46
	s_add_i32 s47, s27, s26
	s_load_dwordx2 s[26:27], s[36:37], 0x0
	s_mul_i32 s49, s49, s46
	s_add_i32 s47, s47, s49
	s_mul_i32 s48, s48, s46
	s_add_u32 s23, s48, s23
	s_addc_u32 s50, s47, s50
	s_waitcnt lgkmcnt(0)
	s_mul_i32 s45, s26, s45
	s_mul_hi_u32 s47, s26, s46
	s_add_i32 s45, s47, s45
	s_mul_i32 s27, s27, s46
	s_add_i32 s45, s45, s27
	s_mul_i32 s26, s26, s46
	s_add_u32 s4, s26, s4
	s_addc_u32 s5, s45, s5
	s_add_u32 s42, s42, 1
	s_addc_u32 s43, s43, 0
	;; [unrolled: 2-line block ×4, first 2 shown]
	v_cmp_ge_u64_e32 vcc, s[42:43], v[1:2]
	s_add_u32 s40, s40, 8
	s_addc_u32 s41, s41, 0
	s_cbranch_vccnz .LBB0_10
; %bb.8:                                ;   in Loop: Header=BB0_4 Depth=1
	s_mov_b64 s[26:27], s[0:1]
	s_branch .LBB0_4
.LBB0_9:                                ;   in Loop: Header=BB0_4 Depth=1
                                        ; implicit-def: $sgpr0_sgpr1
	s_branch .LBB0_6
.LBB0_10:
	v_mov_b32_e32 v1, s34
	v_mov_b32_e32 v2, s35
	v_cmp_lt_u64_e32 vcc, s[6:7], v[1:2]
	s_mov_b64 s[26:27], 0
	s_cbranch_vccnz .LBB0_12
; %bb.11:
	v_cvt_f32_u32_e32 v1, s34
	s_sub_i32 s0, 0, s34
	v_rcp_iflag_f32_e32 v1, v1
	v_mul_f32_e32 v1, 0x4f7ffffe, v1
	v_cvt_u32_f32_e32 v1, v1
	v_readfirstlane_b32 s1, v1
	s_mul_i32 s0, s0, s1
	s_mul_hi_u32 s0, s1, s0
	s_add_i32 s1, s1, s0
	s_mul_hi_u32 s0, s6, s1
	s_mul_i32 s7, s0, s34
	s_sub_i32 s6, s6, s7
	s_add_i32 s1, s0, 1
	s_sub_i32 s7, s6, s34
	s_cmp_ge_u32 s6, s34
	s_cselect_b32 s0, s1, s0
	s_cselect_b32 s6, s7, s6
	s_add_i32 s1, s0, 1
	s_cmp_ge_u32 s6, s34
	s_cselect_b32 s26, s1, s0
.LBB0_12:
	s_lshl_b64 s[6:7], s[18:19], 3
	s_add_u32 s0, s2, s6
	s_addc_u32 s1, s3, s7
	s_load_dword s0, s[0:1], 0x0
	v_mul_u32_u24_e32 v1, 0x1c72, v0
	v_lshrrev_b32_e32 v1, 16, v1
	v_mul_lo_u16_e32 v2, 9, v1
	v_sub_u16_e32 v12, v0, v2
	s_waitcnt lgkmcnt(0)
	s_mul_i32 s0, s0, s26
	s_add_i32 s2, s0, s23
	v_mov_b32_e32 v2, s21
	v_add_co_u32_e32 v9, vcc, s33, v12
	v_addc_co_u32_e32 v10, vcc, 0, v2, vcc
	s_add_u32 s0, s33, 9
	v_mul_lo_u32 v8, s22, v12
	v_mul_lo_u32 v4, s20, v1
	v_mov_b32_e32 v2, s30
	s_addc_u32 s1, s21, 0
	v_mov_b32_e32 v3, s31
	v_cmp_le_u64_e32 vcc, s[0:1], v[2:3]
	v_cmp_gt_u64_e64 s[0:1], s[30:31], v[9:10]
	v_add_lshl_u32 v2, v8, v4, 3
	s_or_b64 vcc, vcc, s[0:1]
	v_cndmask_b32_e32 v13, -1, v2, vcc
	v_add_u32_e32 v2, 36, v1
	v_mul_lo_u32 v2, s20, v2
	v_add_u32_e32 v3, 0x48, v1
	v_mul_lo_u32 v3, s20, v3
	s_lshl_b32 s18, s2, 3
	v_add_lshl_u32 v2, v8, v2, 3
	v_cndmask_b32_e32 v14, -1, v2, vcc
	v_add_lshl_u32 v2, v8, v3, 3
	v_add_u32_e32 v3, 0x90, v1
	v_mul_lo_u32 v3, s20, v3
	v_cndmask_b32_e32 v15, -1, v2, vcc
	v_add_u32_e32 v2, 0x6c, v1
	v_mul_lo_u32 v16, s20, v2
	v_add_lshl_u32 v2, v8, v3, 3
	s_mov_b32 s3, 0x20000
	s_mov_b32 s2, -2
	s_mov_b32 s0, s12
	s_mov_b32 s1, s13
	v_cndmask_b32_e32 v2, -1, v2, vcc
	v_add_u32_e32 v17, 0xb4, v1
	buffer_load_dwordx2 v[2:3], v2, s[0:3], s18 offen
	s_nop 0
	buffer_load_dwordx2 v[4:5], v13, s[0:3], s18 offen
	buffer_load_dwordx2 v[6:7], v14, s[0:3], s18 offen
	;; [unrolled: 1-line block ×3, first 2 shown]
	v_mul_lo_u32 v15, s20, v17
	v_add_lshl_u32 v13, v8, v16, 3
	v_cndmask_b32_e32 v13, -1, v13, vcc
	buffer_load_dwordx2 v[13:14], v13, s[0:3], s18 offen
	v_add_lshl_u32 v8, v8, v15, 3
	v_cndmask_b32_e32 v8, -1, v8, vcc
	buffer_load_dwordx2 v[15:16], v8, s[0:3], s18 offen
	v_lshlrev_b32_e32 v29, 3, v12
	s_movk_i32 s0, 0xfe98
	s_waitcnt vmcnt(2)
	v_add_f32_e32 v8, v4, v10
	v_add_f32_e32 v17, v10, v2
	v_sub_f32_e32 v18, v11, v3
	v_add_f32_e32 v19, v5, v11
	s_waitcnt vmcnt(1)
	v_add_f32_e32 v23, v7, v14
	v_add_f32_e32 v11, v11, v3
	;; [unrolled: 1-line block ×3, first 2 shown]
	s_waitcnt vmcnt(0)
	v_sub_f32_e32 v22, v14, v16
	v_add_f32_e32 v14, v14, v16
	v_add_f32_e32 v21, v13, v15
	v_sub_f32_e32 v13, v13, v15
	v_fmac_f32_e32 v7, -0.5, v14
	v_add_f32_e32 v8, v8, v2
	v_fma_f32 v4, -0.5, v17, v4
	v_fmac_f32_e32 v5, -0.5, v11
	v_add_f32_e32 v11, v20, v15
	v_fma_f32 v15, -0.5, v21, v6
	v_mov_b32_e32 v21, v7
	v_fmac_f32_e32 v7, 0xbf5db3d7, v13
	v_sub_f32_e32 v10, v10, v2
	v_mov_b32_e32 v17, v4
	v_mov_b32_e32 v14, v15
	v_fmac_f32_e32 v15, 0x3f5db3d7, v22
	v_add_f32_e32 v2, v8, v11
	v_sub_f32_e32 v6, v8, v11
	v_fmac_f32_e32 v21, 0x3f5db3d7, v13
	v_mul_f32_e32 v8, 0xbf5db3d7, v7
	v_fmac_f32_e32 v4, 0x3f5db3d7, v18
	v_mov_b32_e32 v20, v5
	v_fmac_f32_e32 v17, 0xbf5db3d7, v18
	v_fmac_f32_e32 v14, 0xbf5db3d7, v22
	v_mul_f32_e32 v18, -0.5, v7
	v_mul_f32_e32 v7, 0xbf5db3d7, v21
	v_fmac_f32_e32 v8, -0.5, v15
	v_mul_f32_e32 v21, 0.5, v21
	v_add_f32_e32 v19, v19, v3
	v_add_f32_e32 v16, v23, v16
	v_fmac_f32_e32 v5, 0xbf5db3d7, v10
	v_fmac_f32_e32 v20, 0x3f5db3d7, v10
	v_fmac_f32_e32 v7, 0.5, v14
	v_add_f32_e32 v10, v4, v8
	v_fmac_f32_e32 v21, 0x3f5db3d7, v14
	v_sub_f32_e32 v4, v4, v8
	v_mul_u32_u24_e32 v8, 0x1b0, v1
	v_add_f32_e32 v3, v19, v16
	v_fmac_f32_e32 v18, 0x3f5db3d7, v15
	v_add_f32_e32 v13, v17, v7
	v_add_f32_e32 v14, v20, v21
	v_add3_u32 v8, 0, v8, v29
	v_add_f32_e32 v11, v5, v18
	v_sub_f32_e32 v15, v17, v7
	v_sub_f32_e32 v7, v19, v16
	;; [unrolled: 1-line block ×4, first 2 shown]
	ds_write2_b64 v8, v[2:3], v[13:14] offset1:9
	ds_write2_b64 v8, v[10:11], v[6:7] offset0:18 offset1:27
	ds_write2_b64 v8, v[15:16], v[4:5] offset0:36 offset1:45
	v_mul_lo_u16_e32 v2, 43, v1
	v_lshrrev_b16_e32 v13, 8, v2
	v_mul_lo_u16_e32 v2, 6, v13
	v_sub_u16_e32 v2, v1, v2
	v_and_b32_e32 v30, 0xff, v2
	v_mul_u32_u24_e32 v2, 5, v30
	v_lshlrev_b32_e32 v10, 3, v2
	s_waitcnt lgkmcnt(0)
	s_barrier
	global_load_dwordx4 v[2:5], v10, s[28:29]
	global_load_dwordx4 v[15:18], v10, s[28:29] offset:16
	global_load_dwordx2 v[6:7], v10, s[28:29] offset:32
	v_mad_i32_i24 v14, v1, s0, v8
	ds_read_b64 v[10:11], v14 offset:2592
	ds_read_b64 v[19:20], v14 offset:5184
	;; [unrolled: 1-line block ×5, first 2 shown]
	ds_read_b64 v[27:28], v14
	s_waitcnt vmcnt(0) lgkmcnt(0)
	s_barrier
	v_mul_f32_e32 v8, v3, v11
	v_mul_f32_e32 v3, v3, v10
	v_mul_f32_e32 v31, v5, v20
	v_mul_f32_e32 v5, v5, v19
	v_mul_f32_e32 v32, v16, v22
	v_mul_f32_e32 v16, v16, v21
	v_mul_f32_e32 v34, v7, v26
	v_mul_f32_e32 v7, v7, v25
	v_mul_f32_e32 v33, v18, v24
	v_mul_f32_e32 v18, v18, v23
	v_fmac_f32_e32 v8, v2, v10
	v_fma_f32 v2, v2, v11, -v3
	v_fmac_f32_e32 v31, v4, v19
	v_fma_f32 v3, v4, v20, -v5
	v_fmac_f32_e32 v32, v15, v21
	v_fma_f32 v4, v15, v22, -v16
	v_fmac_f32_e32 v34, v6, v25
	v_fma_f32 v6, v6, v26, -v7
	v_fmac_f32_e32 v33, v17, v23
	v_fma_f32 v5, v17, v24, -v18
	v_add_f32_e32 v18, v32, v34
	v_sub_f32_e32 v20, v4, v6
	v_add_f32_e32 v21, v2, v4
	v_add_f32_e32 v4, v4, v6
	;; [unrolled: 1-line block ×3, first 2 shown]
	v_sub_f32_e32 v11, v3, v5
	v_add_f32_e32 v16, v28, v3
	v_add_f32_e32 v3, v3, v5
	;; [unrolled: 1-line block ×3, first 2 shown]
	v_sub_f32_e32 v19, v32, v34
	v_fmac_f32_e32 v8, -0.5, v18
	v_fmac_f32_e32 v2, -0.5, v4
	v_add_f32_e32 v5, v16, v5
	v_fmac_f32_e32 v28, -0.5, v3
	v_add_f32_e32 v16, v17, v34
	v_fma_f32 v17, -0.5, v10, v27
	v_mov_b32_e32 v3, v8
	v_mov_b32_e32 v4, v2
	v_fmac_f32_e32 v2, 0xbf5db3d7, v19
	v_sub_f32_e32 v15, v31, v33
	v_mov_b32_e32 v10, v17
	v_mov_b32_e32 v18, v28
	v_fmac_f32_e32 v8, 0x3f5db3d7, v20
	v_fmac_f32_e32 v3, 0xbf5db3d7, v20
	;; [unrolled: 1-line block ×3, first 2 shown]
	v_mul_f32_e32 v19, 0xbf5db3d7, v2
	v_mul_f32_e32 v20, -0.5, v2
	v_add_f32_e32 v7, v27, v31
	v_fmac_f32_e32 v17, 0x3f5db3d7, v11
	v_fmac_f32_e32 v28, 0xbf5db3d7, v15
	;; [unrolled: 1-line block ×4, first 2 shown]
	v_mul_f32_e32 v11, 0xbf5db3d7, v4
	v_fmac_f32_e32 v19, -0.5, v8
	v_mul_f32_e32 v15, 0.5, v4
	v_fmac_f32_e32 v20, 0x3f5db3d7, v8
	v_mad_u32_u24 v8, v13, 36, v30
	v_add_f32_e32 v7, v7, v33
	v_add_f32_e32 v6, v21, v6
	v_fmac_f32_e32 v11, 0.5, v3
	v_fmac_f32_e32 v15, 0x3f5db3d7, v3
	v_mul_u32_u24_e32 v8, 0x48, v8
	v_add_f32_e32 v2, v7, v16
	v_add_f32_e32 v3, v5, v6
	v_sub_f32_e32 v4, v7, v16
	v_sub_f32_e32 v5, v5, v6
	v_add_f32_e32 v6, v10, v11
	v_add_f32_e32 v7, v18, v15
	v_add3_u32 v8, 0, v8, v29
	v_sub_f32_e32 v10, v10, v11
	v_sub_f32_e32 v11, v18, v15
	v_add_f32_e32 v15, v17, v19
	v_add_f32_e32 v16, v28, v20
	v_sub_f32_e32 v17, v17, v19
	v_sub_f32_e32 v18, v28, v20
	ds_write2_b64 v8, v[2:3], v[6:7] offset1:54
	ds_write2_b64 v8, v[15:16], v[4:5] offset0:108 offset1:162
	v_add_u32_e32 v2, 0x400, v8
	ds_write2_b64 v2, v[10:11], v[17:18] offset0:88 offset1:142
	s_waitcnt lgkmcnt(0)
	s_barrier
	s_and_saveexec_b64 s[0:1], vcc
	s_cbranch_execz .LBB0_14
; %bb.13:
	v_mul_lo_u16_e32 v2, 29, v1
	v_lshrrev_b16_e32 v2, 10, v2
	v_mul_lo_u16_e32 v2, 36, v2
	v_sub_u16_e32 v1, v1, v2
	v_and_b32_e32 v13, 0xff, v1
	v_mul_u32_u24_e32 v1, 5, v13
	v_lshlrev_b32_e32 v16, 3, v1
	global_load_dwordx4 v[5:8], v16, s[28:29] offset:256
	global_load_dwordx4 v[1:4], v16, s[28:29] offset:240
	ds_read_b64 v[17:18], v14 offset:10368
	ds_read_b64 v[10:11], v14 offset:12960
	ds_read_b64 v[19:20], v14 offset:7776
	ds_read_b64 v[21:22], v14 offset:5184
	ds_read_b64 v[23:24], v14 offset:2592
	ds_read_b64 v[25:26], v14
	v_add_u32_e32 v14, 0xb4, v13
	v_add_u32_e32 v27, 0x90, v13
	;; [unrolled: 1-line block ×5, first 2 shown]
	v_mul_lo_u32 v14, v9, v14
	v_mul_lo_u32 v31, v9, v27
	;; [unrolled: 1-line block ×5, first 2 shown]
	v_mov_b32_e32 v15, 3
	global_load_dwordx2 v[27:28], v16, s[28:29] offset:272
	v_lshlrev_b32_sdwa v16, v15, v14 dst_sel:DWORD dst_unused:UNUSED_PAD src0_sel:DWORD src1_sel:BYTE_0
	v_lshlrev_b32_sdwa v14, v15, v14 dst_sel:DWORD dst_unused:UNUSED_PAD src0_sel:DWORD src1_sel:BYTE_1
	v_lshlrev_b32_sdwa v37, v15, v31 dst_sel:DWORD dst_unused:UNUSED_PAD src0_sel:DWORD src1_sel:BYTE_0
	v_lshlrev_b32_sdwa v38, v15, v31 dst_sel:DWORD dst_unused:UNUSED_PAD src0_sel:DWORD src1_sel:BYTE_1
	v_lshlrev_b32_sdwa v39, v15, v32 dst_sel:DWORD dst_unused:UNUSED_PAD src0_sel:DWORD src1_sel:BYTE_0
	v_lshlrev_b32_sdwa v40, v15, v32 dst_sel:DWORD dst_unused:UNUSED_PAD src0_sel:DWORD src1_sel:BYTE_1
	v_lshlrev_b32_sdwa v41, v15, v29 dst_sel:DWORD dst_unused:UNUSED_PAD src0_sel:DWORD src1_sel:BYTE_0
	v_lshlrev_b32_sdwa v42, v15, v29 dst_sel:DWORD dst_unused:UNUSED_PAD src0_sel:DWORD src1_sel:BYTE_1
	v_lshlrev_b32_sdwa v43, v15, v30 dst_sel:DWORD dst_unused:UNUSED_PAD src0_sel:DWORD src1_sel:BYTE_0
	v_lshlrev_b32_sdwa v44, v15, v30 dst_sel:DWORD dst_unused:UNUSED_PAD src0_sel:DWORD src1_sel:BYTE_1
	global_load_dwordx2 v[29:30], v16, s[16:17]
	global_load_dwordx2 v[31:32], v14, s[16:17] offset:2048
	global_load_dwordx2 v[33:34], v37, s[16:17]
	global_load_dwordx2 v[35:36], v38, s[16:17] offset:2048
	v_mul_lo_u32 v9, v9, v13
	s_add_u32 s0, s24, s6
	s_addc_u32 s1, s25, s7
	s_waitcnt vmcnt(6) lgkmcnt(5)
	v_mul_f32_e32 v14, v8, v17
	v_mul_f32_e32 v37, v8, v18
	v_fma_f32 v38, v7, v18, -v14
	v_fmac_f32_e32 v37, v7, v17
	s_waitcnt lgkmcnt(3)
	v_mul_f32_e32 v7, v6, v19
	v_mul_f32_e32 v45, v6, v20
	v_fma_f32 v46, v5, v20, -v7
	v_fmac_f32_e32 v45, v5, v19
	global_load_dwordx2 v[5:6], v39, s[16:17]
	global_load_dwordx2 v[7:8], v40, s[16:17] offset:2048
	global_load_dwordx2 v[16:17], v41, s[16:17]
	global_load_dwordx2 v[18:19], v42, s[16:17] offset:2048
	s_waitcnt vmcnt(9) lgkmcnt(2)
	v_mul_f32_e32 v14, v4, v21
	v_mul_f32_e32 v39, v4, v22
	s_waitcnt lgkmcnt(1)
	v_mul_f32_e32 v40, v2, v24
	v_mul_f32_e32 v2, v2, v23
	v_fma_f32 v22, v3, v22, -v14
	v_fmac_f32_e32 v39, v3, v21
	v_fmac_f32_e32 v40, v1, v23
	v_fma_f32 v23, v1, v24, -v2
	global_load_dwordx2 v[1:2], v43, s[16:17]
	global_load_dwordx2 v[3:4], v44, s[16:17] offset:2048
	v_lshlrev_b32_sdwa v24, v15, v9 dst_sel:DWORD dst_unused:UNUSED_PAD src0_sel:DWORD src1_sel:BYTE_0
	v_lshlrev_b32_sdwa v9, v15, v9 dst_sel:DWORD dst_unused:UNUSED_PAD src0_sel:DWORD src1_sel:BYTE_1
	global_load_dwordx2 v[14:15], v24, s[16:17]
	global_load_dwordx2 v[20:21], v9, s[16:17] offset:2048
	s_waitcnt vmcnt(12)
	v_mul_f32_e32 v9, v28, v10
	v_mul_f32_e32 v24, v28, v11
	v_fma_f32 v9, v27, v11, -v9
	v_fmac_f32_e32 v24, v27, v10
	s_waitcnt vmcnt(10)
	v_mul_f32_e32 v11, v30, v32
	v_mul_f32_e32 v27, v29, v32
	s_waitcnt vmcnt(8)
	v_mul_f32_e32 v28, v34, v36
	v_fma_f32 v11, v29, v31, -v11
	v_fmac_f32_e32 v27, v30, v31
	v_mul_f32_e32 v32, v33, v36
	v_fma_f32 v28, v33, v35, -v28
	v_add_f32_e32 v10, v45, v24
	v_fmac_f32_e32 v32, v34, v35
	v_sub_f32_e32 v35, v22, v38
	s_load_dwordx2 s[0:1], s[0:1], 0x0
	s_waitcnt lgkmcnt(0)
	s_mul_i32 s1, s1, s26
	s_mul_hi_u32 s2, s0, s26
	s_add_i32 s1, s2, s1
	s_mul_i32 s0, s0, s26
	s_lshl_b64 s[0:1], s[0:1], 3
	s_waitcnt vmcnt(6)
	v_mul_f32_e32 v29, v6, v8
	v_mul_f32_e32 v8, v5, v8
	s_waitcnt vmcnt(4)
	v_mul_f32_e32 v30, v17, v19
	v_mul_f32_e32 v19, v16, v19
	v_fmac_f32_e32 v19, v17, v18
	v_fmac_f32_e32 v8, v6, v7
	v_sub_f32_e32 v6, v45, v24
	v_fma_f32 v29, v5, v7, -v29
	v_sub_f32_e32 v5, v46, v9
	v_fma_f32 v16, v16, v18, -v30
	v_sub_f32_e32 v30, v39, v37
	s_waitcnt vmcnt(2)
	v_mul_f32_e32 v31, v2, v4
	v_mul_f32_e32 v33, v1, v4
	v_fma_f32 v17, v1, v3, -v31
	v_add_f32_e32 v1, v46, v9
	v_fma_f32 v4, -0.5, v1, v23
	v_fmac_f32_e32 v33, v2, v3
	v_fma_f32 v3, -0.5, v10, v40
	v_mov_b32_e32 v2, v4
	v_mov_b32_e32 v1, v3
	v_fmac_f32_e32 v2, 0xbf5db3d7, v6
	v_fmac_f32_e32 v1, 0x3f5db3d7, v5
	v_mul_f32_e32 v7, -0.5, v2
	v_mul_f32_e32 v10, 0xbf5db3d7, v2
	v_fmac_f32_e32 v7, 0x3f5db3d7, v1
	v_fmac_f32_e32 v10, -0.5, v1
	v_add_f32_e32 v1, v22, v38
	v_fma_f32 v18, -0.5, v1, v26
	v_add_f32_e32 v1, v39, v37
	v_fma_f32 v34, -0.5, v1, v25
	v_mov_b32_e32 v36, v34
	v_mov_b32_e32 v31, v18
	v_fmac_f32_e32 v36, 0x3f5db3d7, v35
	v_fmac_f32_e32 v31, 0xbf5db3d7, v30
	v_sub_f32_e32 v41, v36, v10
	v_sub_f32_e32 v1, v31, v7
	v_mul_f32_e32 v2, v41, v27
	v_fmac_f32_e32 v4, 0x3f5db3d7, v6
	v_fma_f32 v2, v1, v11, -v2
	v_mul_f32_e32 v1, v1, v27
	v_fmac_f32_e32 v3, 0xbf5db3d7, v5
	v_mul_f32_e32 v27, 0xbf5db3d7, v4
	v_fmac_f32_e32 v1, v41, v11
	v_fmac_f32_e32 v34, 0xbf5db3d7, v35
	v_mul_f32_e32 v11, 0.5, v4
	v_fmac_f32_e32 v27, 0.5, v3
	v_fmac_f32_e32 v18, 0x3f5db3d7, v30
	v_fmac_f32_e32 v11, 0x3f5db3d7, v3
	v_sub_f32_e32 v5, v34, v27
	v_sub_f32_e32 v3, v18, v11
	v_mul_f32_e32 v4, v5, v32
	v_fma_f32 v4, v3, v28, -v4
	v_mul_f32_e32 v3, v3, v32
	v_fmac_f32_e32 v3, v5, v28
	v_add_f32_e32 v5, v26, v22
	v_add_f32_e32 v22, v5, v38
	;; [unrolled: 1-line block ×8, first 2 shown]
	v_sub_f32_e32 v9, v25, v24
	v_sub_f32_e32 v5, v22, v23
	v_mul_f32_e32 v6, v9, v8
	v_fma_f32 v6, v5, v29, -v6
	v_mul_f32_e32 v5, v5, v8
	v_fmac_f32_e32 v5, v9, v29
	v_add_f32_e32 v9, v36, v10
	v_add_f32_e32 v7, v31, v7
	v_mul_f32_e32 v8, v9, v19
	v_fma_f32 v8, v7, v16, -v8
	v_mul_f32_e32 v7, v7, v19
	v_fmac_f32_e32 v7, v9, v16
	v_add_f32_e32 v9, v18, v11
	v_add_f32_e32 v11, v34, v27
	v_mul_f32_e32 v10, v11, v33
	s_waitcnt vmcnt(0)
	v_mul_f32_e32 v16, v15, v21
	v_fma_f32 v10, v9, v17, -v10
	v_mul_f32_e32 v9, v9, v33
	v_fma_f32 v16, v14, v20, -v16
	v_mul_f32_e32 v14, v14, v21
	v_fmac_f32_e32 v9, v11, v17
	v_add_f32_e32 v11, v22, v23
	v_add_f32_e32 v17, v25, v24
	v_fmac_f32_e32 v14, v15, v20
	v_mul_f32_e32 v15, v17, v14
	v_mul_f32_e32 v14, v11, v14
	v_fma_f32 v15, v11, v16, -v15
	v_fmac_f32_e32 v14, v17, v16
	v_mad_u64_u32 v[16:17], s[2:3], s10, v12, 0
	s_movk_i32 s2, 0x195
	v_mul_u32_u24_sdwa v0, v0, s2 dst_sel:DWORD dst_unused:UNUSED_PAD src0_sel:WORD_0 src1_sel:DWORD
	v_lshrrev_b32_e32 v0, 17, v0
	v_mul_lo_u16_e32 v0, 0xd8, v0
	v_add_u32_e32 v20, v13, v0
	v_mad_u64_u32 v[18:19], s[2:3], s8, v20, 0
	v_mov_b32_e32 v0, v17
	v_mad_u64_u32 v[11:12], s[2:3], s11, v12, v[0:1]
	v_mov_b32_e32 v0, v19
	v_mad_u64_u32 v[12:13], s[2:3], s9, v20, v[0:1]
	s_add_u32 s2, s14, s0
	s_addc_u32 s3, s15, s1
	s_lshl_b64 s[0:1], s[4:5], 3
	s_add_u32 s2, s2, s0
	v_mov_b32_e32 v17, v11
	s_addc_u32 s0, s3, s1
	v_add_u32_e32 v13, 36, v20
	v_mov_b32_e32 v19, v12
	v_lshlrev_b64 v[11:12], 3, v[16:17]
	v_mov_b32_e32 v0, s0
	v_mad_u64_u32 v[16:17], s[0:1], s8, v13, 0
	v_add_co_u32_e32 v21, vcc, s2, v11
	v_addc_co_u32_e32 v22, vcc, v0, v12, vcc
	v_lshlrev_b64 v[11:12], 3, v[18:19]
	v_mov_b32_e32 v0, v17
	v_mad_u64_u32 v[17:18], s[0:1], s9, v13, v[0:1]
	v_add_co_u32_e32 v11, vcc, v21, v11
	v_addc_co_u32_e32 v12, vcc, v22, v12, vcc
	global_store_dwordx2 v[11:12], v[14:15], off
	v_add_u32_e32 v15, 0x48, v20
	v_mad_u64_u32 v[13:14], s[0:1], s8, v15, 0
	v_lshlrev_b64 v[11:12], 3, v[16:17]
	v_add_co_u32_e32 v11, vcc, v21, v11
	v_addc_co_u32_e32 v12, vcc, v22, v12, vcc
	v_mov_b32_e32 v0, v14
	global_store_dwordx2 v[11:12], v[9:10], off
	v_mad_u64_u32 v[9:10], s[0:1], s9, v15, v[0:1]
	v_add_u32_e32 v15, 0x6c, v20
	v_mad_u64_u32 v[10:11], s[0:1], s8, v15, 0
	v_mov_b32_e32 v14, v9
	v_lshlrev_b64 v[12:13], 3, v[13:14]
	v_mov_b32_e32 v0, v11
	v_mad_u64_u32 v[14:15], s[0:1], s9, v15, v[0:1]
	v_add_co_u32_e32 v11, vcc, v21, v12
	v_addc_co_u32_e32 v12, vcc, v22, v13, vcc
	global_store_dwordx2 v[11:12], v[7:8], off
	v_mov_b32_e32 v11, v14
	v_lshlrev_b64 v[7:8], 3, v[10:11]
	v_add_u32_e32 v11, 0x90, v20
	v_mad_u64_u32 v[9:10], s[0:1], s8, v11, 0
	v_add_co_u32_e32 v7, vcc, v21, v7
	v_addc_co_u32_e32 v8, vcc, v22, v8, vcc
	v_mov_b32_e32 v0, v10
	global_store_dwordx2 v[7:8], v[5:6], off
	v_mad_u64_u32 v[5:6], s[0:1], s9, v11, v[0:1]
	v_add_u32_e32 v11, 0xb4, v20
	v_mad_u64_u32 v[6:7], s[0:1], s8, v11, 0
	v_mov_b32_e32 v10, v5
	v_lshlrev_b64 v[8:9], 3, v[9:10]
	v_mov_b32_e32 v0, v7
	v_mad_u64_u32 v[10:11], s[0:1], s9, v11, v[0:1]
	v_add_co_u32_e32 v7, vcc, v21, v8
	v_addc_co_u32_e32 v8, vcc, v22, v9, vcc
	global_store_dwordx2 v[7:8], v[3:4], off
	v_mov_b32_e32 v7, v10
	v_lshlrev_b64 v[3:4], 3, v[6:7]
	v_add_co_u32_e32 v3, vcc, v21, v3
	v_addc_co_u32_e32 v4, vcc, v22, v4, vcc
	global_store_dwordx2 v[3:4], v[1:2], off
.LBB0_14:
	s_endpgm
	.section	.rodata,"a",@progbits
	.p2align	6, 0x0
	.amdhsa_kernel fft_rtc_back_len216_factors_6_6_6_wgs_324_tpt_36_sp_op_CI_CI_sbcc_twdbase8_2step_dirReg_intrinsicRead
		.amdhsa_group_segment_fixed_size 0
		.amdhsa_private_segment_fixed_size 0
		.amdhsa_kernarg_size 112
		.amdhsa_user_sgpr_count 6
		.amdhsa_user_sgpr_private_segment_buffer 1
		.amdhsa_user_sgpr_dispatch_ptr 0
		.amdhsa_user_sgpr_queue_ptr 0
		.amdhsa_user_sgpr_kernarg_segment_ptr 1
		.amdhsa_user_sgpr_dispatch_id 0
		.amdhsa_user_sgpr_flat_scratch_init 0
		.amdhsa_user_sgpr_private_segment_size 0
		.amdhsa_uses_dynamic_stack 0
		.amdhsa_system_sgpr_private_segment_wavefront_offset 0
		.amdhsa_system_sgpr_workgroup_id_x 1
		.amdhsa_system_sgpr_workgroup_id_y 0
		.amdhsa_system_sgpr_workgroup_id_z 0
		.amdhsa_system_sgpr_workgroup_info 0
		.amdhsa_system_vgpr_workitem_id 0
		.amdhsa_next_free_vgpr 47
		.amdhsa_next_free_sgpr 55
		.amdhsa_reserve_vcc 1
		.amdhsa_reserve_flat_scratch 0
		.amdhsa_float_round_mode_32 0
		.amdhsa_float_round_mode_16_64 0
		.amdhsa_float_denorm_mode_32 3
		.amdhsa_float_denorm_mode_16_64 3
		.amdhsa_dx10_clamp 1
		.amdhsa_ieee_mode 1
		.amdhsa_fp16_overflow 0
		.amdhsa_exception_fp_ieee_invalid_op 0
		.amdhsa_exception_fp_denorm_src 0
		.amdhsa_exception_fp_ieee_div_zero 0
		.amdhsa_exception_fp_ieee_overflow 0
		.amdhsa_exception_fp_ieee_underflow 0
		.amdhsa_exception_fp_ieee_inexact 0
		.amdhsa_exception_int_div_zero 0
	.end_amdhsa_kernel
	.text
.Lfunc_end0:
	.size	fft_rtc_back_len216_factors_6_6_6_wgs_324_tpt_36_sp_op_CI_CI_sbcc_twdbase8_2step_dirReg_intrinsicRead, .Lfunc_end0-fft_rtc_back_len216_factors_6_6_6_wgs_324_tpt_36_sp_op_CI_CI_sbcc_twdbase8_2step_dirReg_intrinsicRead
                                        ; -- End function
	.section	.AMDGPU.csdata,"",@progbits
; Kernel info:
; codeLenInByte = 4268
; NumSgprs: 59
; NumVgprs: 47
; ScratchSize: 0
; MemoryBound: 0
; FloatMode: 240
; IeeeMode: 1
; LDSByteSize: 0 bytes/workgroup (compile time only)
; SGPRBlocks: 7
; VGPRBlocks: 11
; NumSGPRsForWavesPerEU: 59
; NumVGPRsForWavesPerEU: 47
; Occupancy: 5
; WaveLimiterHint : 1
; COMPUTE_PGM_RSRC2:SCRATCH_EN: 0
; COMPUTE_PGM_RSRC2:USER_SGPR: 6
; COMPUTE_PGM_RSRC2:TRAP_HANDLER: 0
; COMPUTE_PGM_RSRC2:TGID_X_EN: 1
; COMPUTE_PGM_RSRC2:TGID_Y_EN: 0
; COMPUTE_PGM_RSRC2:TGID_Z_EN: 0
; COMPUTE_PGM_RSRC2:TIDIG_COMP_CNT: 0
	.type	__hip_cuid_a3773c650b250862,@object ; @__hip_cuid_a3773c650b250862
	.section	.bss,"aw",@nobits
	.globl	__hip_cuid_a3773c650b250862
__hip_cuid_a3773c650b250862:
	.byte	0                               ; 0x0
	.size	__hip_cuid_a3773c650b250862, 1

	.ident	"AMD clang version 19.0.0git (https://github.com/RadeonOpenCompute/llvm-project roc-6.4.0 25133 c7fe45cf4b819c5991fe208aaa96edf142730f1d)"
	.section	".note.GNU-stack","",@progbits
	.addrsig
	.addrsig_sym __hip_cuid_a3773c650b250862
	.amdgpu_metadata
---
amdhsa.kernels:
  - .args:
      - .actual_access:  read_only
        .address_space:  global
        .offset:         0
        .size:           8
        .value_kind:     global_buffer
      - .address_space:  global
        .offset:         8
        .size:           8
        .value_kind:     global_buffer
      - .offset:         16
        .size:           8
        .value_kind:     by_value
      - .actual_access:  read_only
        .address_space:  global
        .offset:         24
        .size:           8
        .value_kind:     global_buffer
      - .actual_access:  read_only
        .address_space:  global
        .offset:         32
        .size:           8
        .value_kind:     global_buffer
      - .actual_access:  read_only
        .address_space:  global
        .offset:         40
        .size:           8
        .value_kind:     global_buffer
      - .offset:         48
        .size:           8
        .value_kind:     by_value
      - .actual_access:  read_only
        .address_space:  global
        .offset:         56
        .size:           8
        .value_kind:     global_buffer
      - .actual_access:  read_only
        .address_space:  global
        .offset:         64
        .size:           8
        .value_kind:     global_buffer
      - .offset:         72
        .size:           4
        .value_kind:     by_value
      - .actual_access:  read_only
        .address_space:  global
        .offset:         80
        .size:           8
        .value_kind:     global_buffer
      - .actual_access:  read_only
        .address_space:  global
        .offset:         88
        .size:           8
        .value_kind:     global_buffer
      - .address_space:  global
        .offset:         96
        .size:           8
        .value_kind:     global_buffer
      - .actual_access:  write_only
        .address_space:  global
        .offset:         104
        .size:           8
        .value_kind:     global_buffer
    .group_segment_fixed_size: 0
    .kernarg_segment_align: 8
    .kernarg_segment_size: 112
    .language:       OpenCL C
    .language_version:
      - 2
      - 0
    .max_flat_workgroup_size: 324
    .name:           fft_rtc_back_len216_factors_6_6_6_wgs_324_tpt_36_sp_op_CI_CI_sbcc_twdbase8_2step_dirReg_intrinsicRead
    .private_segment_fixed_size: 0
    .sgpr_count:     59
    .sgpr_spill_count: 0
    .symbol:         fft_rtc_back_len216_factors_6_6_6_wgs_324_tpt_36_sp_op_CI_CI_sbcc_twdbase8_2step_dirReg_intrinsicRead.kd
    .uniform_work_group_size: 1
    .uses_dynamic_stack: false
    .vgpr_count:     47
    .vgpr_spill_count: 0
    .wavefront_size: 64
amdhsa.target:   amdgcn-amd-amdhsa--gfx906
amdhsa.version:
  - 1
  - 2
...

	.end_amdgpu_metadata
